;; amdgpu-corpus repo=ROCm/rocFFT kind=compiled arch=gfx906 opt=O3
	.text
	.amdgcn_target "amdgcn-amd-amdhsa--gfx906"
	.amdhsa_code_object_version 6
	.protected	r2c_even_post_Ndiv4_dim3_dp_CI_CP ; -- Begin function r2c_even_post_Ndiv4_dim3_dp_CI_CP
	.globl	r2c_even_post_Ndiv4_dim3_dp_CI_CP
	.p2align	8
	.type	r2c_even_post_Ndiv4_dim3_dp_CI_CP,@function
r2c_even_post_Ndiv4_dim3_dp_CI_CP:      ; @r2c_even_post_Ndiv4_dim3_dp_CI_CP
; %bb.0:
	s_load_dwordx4 s[8:11], s[4:5], 0x0
	s_load_dword s0, s[4:5], 0x10
	s_load_dword s1, s[4:5], 0x7c
	s_waitcnt lgkmcnt(0)
	v_cvt_f32_u32_e32 v1, s8
	v_cvt_f32_u32_e32 v2, s11
	s_sub_i32 s2, 0, s8
	s_and_b32 s1, s1, 0xffff
	v_rcp_iflag_f32_e32 v1, v1
	v_rcp_iflag_f32_e32 v2, v2
	s_mul_i32 s6, s6, s1
	v_add_u32_e32 v4, s6, v0
	v_mul_f32_e32 v1, 0x4f7ffffe, v1
	v_cvt_u32_f32_e32 v1, v1
	v_mul_f32_e32 v2, 0x4f7ffffe, v2
	v_cvt_u32_f32_e32 v2, v2
	s_add_i32 s1, s8, 1
	v_mul_lo_u32 v3, s2, v1
	s_sub_i32 s2, 0, s11
	v_mul_lo_u32 v0, s2, v2
	s_lshr_b32 s12, s1, 1
	v_mul_hi_u32 v3, v1, v3
	v_mul_hi_u32 v0, v2, v0
	v_add_u32_e32 v1, v1, v3
	v_mul_hi_u32 v1, v4, v1
	v_add_u32_e32 v2, v2, v0
	v_mul_lo_u32 v3, v1, s8
	v_add_u32_e32 v0, 1, v1
	v_sub_u32_e32 v3, v4, v3
	v_cmp_le_u32_e32 vcc, s8, v3
	v_cndmask_b32_e32 v0, v1, v0, vcc
	v_subrev_u32_e32 v1, s8, v3
	v_cndmask_b32_e32 v1, v3, v1, vcc
	v_add_u32_e32 v3, 1, v0
	v_cmp_le_u32_e32 vcc, s8, v1
	v_cndmask_b32_e32 v0, v0, v3, vcc
	v_mul_hi_u32 v1, v0, v2
	v_mul_lo_u32 v2, v0, s8
	v_mul_lo_u32 v3, v1, s11
	v_sub_u32_e32 v6, v4, v2
	v_add_u32_e32 v2, 1, v1
	v_sub_u32_e32 v3, v0, v3
	v_cmp_le_u32_e32 vcc, s11, v3
	v_cndmask_b32_e32 v1, v1, v2, vcc
	v_subrev_u32_e32 v2, s11, v3
	v_cndmask_b32_e32 v2, v3, v2, vcc
	v_add_u32_e32 v3, 1, v1
	v_cmp_le_u32_e32 vcc, s11, v2
	v_cndmask_b32_e32 v1, v1, v3, vcc
	v_cmp_gt_u32_e32 vcc, s0, v1
	v_cmp_gt_u32_e64 s[0:1], s12, v6
	s_and_b64 s[0:1], s[0:1], vcc
	s_and_saveexec_b64 s[2:3], s[0:1]
	s_cbranch_execz .LBB0_6
; %bb.1:
	s_load_dword s13, s[4:5], 0x20
	s_load_dword s14, s[4:5], 0x38
	v_mul_lo_u32 v3, v1, s11
	s_load_dwordx2 s[6:7], s[4:5], 0x18
	s_load_dwordx4 s[0:3], s[4:5], 0x28
	v_cmp_ne_u32_e32 vcc, 0, v6
	s_waitcnt lgkmcnt(0)
	v_mul_lo_u32 v2, v1, s13
	v_sub_u32_e32 v3, v0, v3
	v_mul_lo_u32 v0, v1, s14
	v_mad_u64_u32 v[7:8], s[14:15], v3, s9, v[2:3]
	v_mad_u64_u32 v[4:5], s[10:11], v3, s10, v[0:1]
                                        ; implicit-def: $vgpr2_vgpr3
                                        ; implicit-def: $vgpr5
	s_and_saveexec_b64 s[10:11], vcc
	s_xor_b64 s[10:11], exec, s[10:11]
	s_cbranch_execz .LBB0_3
; %bb.2:
	v_add_u32_e32 v10, v7, v6
	v_mov_b32_e32 v11, 0
	v_lshlrev_b64 v[0:1], 4, v[10:11]
	v_sub_u32_e32 v5, s8, v6
	v_mov_b32_e32 v2, s7
	v_add_co_u32_e32 v12, vcc, s6, v0
	v_add_u32_e32 v10, v7, v5
	v_addc_co_u32_e32 v13, vcc, v2, v1, vcc
	v_lshlrev_b64 v[0:1], 4, v[10:11]
	s_load_dwordx2 s[4:5], s[4:5], 0x40
	v_add_co_u32_e32 v14, vcc, s6, v0
	v_addc_co_u32_e32 v15, vcc, v2, v1, vcc
	global_load_dwordx4 v[0:3], v[12:13], off
	global_load_dwordx4 v[7:10], v[14:15], off
	s_waitcnt vmcnt(0)
	v_add_f64 v[12:13], v[0:1], v[7:8]
	v_add_f64 v[0:1], v[0:1], -v[7:8]
	v_mov_b32_e32 v7, v11
	v_lshlrev_b64 v[7:8], 4, v[6:7]
	v_add_f64 v[14:15], v[2:3], v[9:10]
	v_add_f64 v[2:3], v[2:3], -v[9:10]
	s_waitcnt lgkmcnt(0)
	v_mov_b32_e32 v9, s5
	v_add_co_u32_e32 v7, vcc, s4, v7
	v_addc_co_u32_e32 v8, vcc, v9, v8, vcc
	global_load_dwordx4 v[7:10], v[7:8], off
	v_mul_f64 v[0:1], v[0:1], 0.5
	v_mul_f64 v[14:15], v[14:15], 0.5
	;; [unrolled: 1-line block ×3, first 2 shown]
	s_waitcnt vmcnt(0)
	v_mul_f64 v[16:17], v[0:1], v[9:10]
	v_fma_f64 v[18:19], v[12:13], 0.5, v[16:17]
	v_fma_f64 v[12:13], v[12:13], 0.5, -v[16:17]
	v_fma_f64 v[16:17], v[14:15], v[9:10], v[2:3]
	v_fma_f64 v[2:3], v[14:15], v[9:10], -v[2:3]
	v_add_u32_e32 v10, v4, v6
	v_lshlrev_b64 v[9:10], 3, v[10:11]
	v_add_co_u32_e32 v11, vcc, s0, v9
	v_fma_f64 v[16:17], -v[0:1], v[7:8], v[16:17]
	v_fma_f64 v[2:3], -v[0:1], v[7:8], v[2:3]
	;; [unrolled: 1-line block ×3, first 2 shown]
	v_fma_f64 v[7:8], v[7:8], v[14:15], v[18:19]
	v_mov_b32_e32 v12, s1
	v_addc_co_u32_e32 v12, vcc, v12, v10, vcc
	v_mov_b32_e32 v13, s3
	v_add_co_u32_e32 v9, vcc, s2, v9
	v_addc_co_u32_e32 v10, vcc, v13, v10, vcc
	global_store_dwordx2 v[11:12], v[7:8], off
	global_store_dwordx2 v[9:10], v[16:17], off
                                        ; implicit-def: $vgpr7_vgpr8
.LBB0_3:
	s_andn2_saveexec_b64 s[4:5], s[10:11]
	s_cbranch_execz .LBB0_5
; %bb.4:
	v_mov_b32_e32 v8, 0
	v_lshlrev_b64 v[0:1], 4, v[7:8]
	v_mov_b32_e32 v2, s7
	v_add_co_u32_e32 v0, vcc, s6, v0
	v_addc_co_u32_e32 v1, vcc, v2, v1, vcc
	global_load_dwordx4 v[9:12], v[0:1], off
	v_add_u32_e32 v0, s8, v4
	v_mov_b32_e32 v1, v8
	v_lshlrev_b64 v[0:1], 3, v[0:1]
	v_mov_b32_e32 v3, s1
	v_add_co_u32_e32 v13, vcc, s0, v0
	v_addc_co_u32_e32 v14, vcc, v3, v1, vcc
	v_mov_b32_e32 v18, s3
	v_add_co_u32_e32 v15, vcc, s2, v0
	v_mov_b32_e32 v5, v8
	v_addc_co_u32_e32 v16, vcc, v18, v1, vcc
	v_lshlrev_b64 v[0:1], 3, v[4:5]
	v_add_u32_e32 v7, s12, v7
	v_add_co_u32_e32 v5, vcc, s0, v0
	v_addc_co_u32_e32 v6, vcc, v3, v1, vcc
	v_add_co_u32_e32 v17, vcc, s2, v0
	v_addc_co_u32_e32 v18, vcc, v18, v1, vcc
	v_lshlrev_b64 v[0:1], 4, v[7:8]
	v_add_co_u32_e32 v0, vcc, s6, v0
	v_addc_co_u32_e32 v1, vcc, v2, v1, vcc
	global_load_dwordx4 v[0:3], v[0:1], off
	s_mov_b32 s6, 0
	s_mov_b32 s7, s6
	s_waitcnt vmcnt(1)
	v_add_f64 v[7:8], v[9:10], -v[11:12]
	v_add_f64 v[9:10], v[9:10], v[11:12]
	v_mov_b32_e32 v12, s7
	v_mov_b32_e32 v11, s6
	global_store_dwordx2 v[15:16], v[11:12], off
	global_store_dwordx2 v[17:18], v[11:12], off
	;; [unrolled: 1-line block ×4, first 2 shown]
	v_mov_b32_e32 v5, s12
	s_waitcnt vmcnt(4)
	v_xor_b32_e32 v3, 0x80000000, v3
.LBB0_5:
	s_or_b64 exec, exec, s[4:5]
	v_add_u32_e32 v4, v4, v5
	v_mov_b32_e32 v5, 0
	v_lshlrev_b64 v[4:5], 3, v[4:5]
	v_mov_b32_e32 v7, s1
	v_add_co_u32_e32 v6, vcc, s0, v4
	v_addc_co_u32_e32 v7, vcc, v7, v5, vcc
	global_store_dwordx2 v[6:7], v[0:1], off
	v_mov_b32_e32 v1, s3
	v_add_co_u32_e32 v0, vcc, s2, v4
	v_addc_co_u32_e32 v1, vcc, v1, v5, vcc
	global_store_dwordx2 v[0:1], v[2:3], off
.LBB0_6:
	s_endpgm
	.section	.rodata,"a",@progbits
	.p2align	6, 0x0
	.amdhsa_kernel r2c_even_post_Ndiv4_dim3_dp_CI_CP
		.amdhsa_group_segment_fixed_size 0
		.amdhsa_private_segment_fixed_size 0
		.amdhsa_kernarg_size 368
		.amdhsa_user_sgpr_count 6
		.amdhsa_user_sgpr_private_segment_buffer 1
		.amdhsa_user_sgpr_dispatch_ptr 0
		.amdhsa_user_sgpr_queue_ptr 0
		.amdhsa_user_sgpr_kernarg_segment_ptr 1
		.amdhsa_user_sgpr_dispatch_id 0
		.amdhsa_user_sgpr_flat_scratch_init 0
		.amdhsa_user_sgpr_private_segment_size 0
		.amdhsa_uses_dynamic_stack 0
		.amdhsa_system_sgpr_private_segment_wavefront_offset 0
		.amdhsa_system_sgpr_workgroup_id_x 1
		.amdhsa_system_sgpr_workgroup_id_y 0
		.amdhsa_system_sgpr_workgroup_id_z 0
		.amdhsa_system_sgpr_workgroup_info 0
		.amdhsa_system_vgpr_workitem_id 0
		.amdhsa_next_free_vgpr 20
		.amdhsa_next_free_sgpr 16
		.amdhsa_reserve_vcc 1
		.amdhsa_reserve_flat_scratch 0
		.amdhsa_float_round_mode_32 0
		.amdhsa_float_round_mode_16_64 0
		.amdhsa_float_denorm_mode_32 3
		.amdhsa_float_denorm_mode_16_64 3
		.amdhsa_dx10_clamp 1
		.amdhsa_ieee_mode 1
		.amdhsa_fp16_overflow 0
		.amdhsa_exception_fp_ieee_invalid_op 0
		.amdhsa_exception_fp_denorm_src 0
		.amdhsa_exception_fp_ieee_div_zero 0
		.amdhsa_exception_fp_ieee_overflow 0
		.amdhsa_exception_fp_ieee_underflow 0
		.amdhsa_exception_fp_ieee_inexact 0
		.amdhsa_exception_int_div_zero 0
	.end_amdhsa_kernel
	.text
.Lfunc_end0:
	.size	r2c_even_post_Ndiv4_dim3_dp_CI_CP, .Lfunc_end0-r2c_even_post_Ndiv4_dim3_dp_CI_CP
                                        ; -- End function
	.section	.AMDGPU.csdata,"",@progbits
; Kernel info:
; codeLenInByte = 960
; NumSgprs: 20
; NumVgprs: 20
; ScratchSize: 0
; MemoryBound: 0
; FloatMode: 240
; IeeeMode: 1
; LDSByteSize: 0 bytes/workgroup (compile time only)
; SGPRBlocks: 2
; VGPRBlocks: 4
; NumSGPRsForWavesPerEU: 20
; NumVGPRsForWavesPerEU: 20
; Occupancy: 10
; WaveLimiterHint : 0
; COMPUTE_PGM_RSRC2:SCRATCH_EN: 0
; COMPUTE_PGM_RSRC2:USER_SGPR: 6
; COMPUTE_PGM_RSRC2:TRAP_HANDLER: 0
; COMPUTE_PGM_RSRC2:TGID_X_EN: 1
; COMPUTE_PGM_RSRC2:TGID_Y_EN: 0
; COMPUTE_PGM_RSRC2:TGID_Z_EN: 0
; COMPUTE_PGM_RSRC2:TIDIG_COMP_CNT: 0
	.type	__hip_cuid_916b529dfd356484,@object ; @__hip_cuid_916b529dfd356484
	.section	.bss,"aw",@nobits
	.globl	__hip_cuid_916b529dfd356484
__hip_cuid_916b529dfd356484:
	.byte	0                               ; 0x0
	.size	__hip_cuid_916b529dfd356484, 1

	.ident	"AMD clang version 19.0.0git (https://github.com/RadeonOpenCompute/llvm-project roc-6.4.0 25133 c7fe45cf4b819c5991fe208aaa96edf142730f1d)"
	.section	".note.GNU-stack","",@progbits
	.addrsig
	.addrsig_sym __hip_cuid_916b529dfd356484
	.amdgpu_metadata
---
amdhsa.kernels:
  - .args:
      - .offset:         0
        .size:           4
        .value_kind:     by_value
      - .offset:         4
        .size:           4
        .value_kind:     by_value
      - .offset:         8
        .size:           4
        .value_kind:     by_value
      - .offset:         12
        .size:           4
        .value_kind:     by_value
      - .offset:         16
        .size:           4
        .value_kind:     by_value
      - .actual_access:  read_only
        .address_space:  global
        .offset:         24
        .size:           8
        .value_kind:     global_buffer
      - .offset:         32
        .size:           4
        .value_kind:     by_value
      - .actual_access:  write_only
        .address_space:  global
        .offset:         40
        .size:           8
        .value_kind:     global_buffer
      - .actual_access:  write_only
        .address_space:  global
        .offset:         48
        .size:           8
        .value_kind:     global_buffer
      - .offset:         56
        .size:           4
        .value_kind:     by_value
      - .actual_access:  read_only
        .address_space:  global
        .offset:         64
        .size:           8
        .value_kind:     global_buffer
      - .actual_access:  read_only
        .address_space:  global
        .offset:         72
        .size:           8
        .value_kind:     global_buffer
      - .actual_access:  read_only
        .address_space:  global
        .offset:         80
        .size:           8
        .value_kind:     global_buffer
      - .offset:         88
        .size:           4
        .value_kind:     by_value
      - .actual_access:  read_only
        .address_space:  global
        .offset:         96
        .size:           8
        .value_kind:     global_buffer
      - .actual_access:  read_only
        .address_space:  global
        .offset:         104
        .size:           8
        .value_kind:     global_buffer
      - .offset:         112
        .size:           4
        .value_kind:     hidden_block_count_x
      - .offset:         116
        .size:           4
        .value_kind:     hidden_block_count_y
      - .offset:         120
        .size:           4
        .value_kind:     hidden_block_count_z
      - .offset:         124
        .size:           2
        .value_kind:     hidden_group_size_x
      - .offset:         126
        .size:           2
        .value_kind:     hidden_group_size_y
      - .offset:         128
        .size:           2
        .value_kind:     hidden_group_size_z
      - .offset:         130
        .size:           2
        .value_kind:     hidden_remainder_x
      - .offset:         132
        .size:           2
        .value_kind:     hidden_remainder_y
      - .offset:         134
        .size:           2
        .value_kind:     hidden_remainder_z
      - .offset:         152
        .size:           8
        .value_kind:     hidden_global_offset_x
      - .offset:         160
        .size:           8
        .value_kind:     hidden_global_offset_y
      - .offset:         168
        .size:           8
        .value_kind:     hidden_global_offset_z
      - .offset:         176
        .size:           2
        .value_kind:     hidden_grid_dims
    .group_segment_fixed_size: 0
    .kernarg_segment_align: 8
    .kernarg_segment_size: 368
    .language:       OpenCL C
    .language_version:
      - 2
      - 0
    .max_flat_workgroup_size: 256
    .name:           r2c_even_post_Ndiv4_dim3_dp_CI_CP
    .private_segment_fixed_size: 0
    .sgpr_count:     20
    .sgpr_spill_count: 0
    .symbol:         r2c_even_post_Ndiv4_dim3_dp_CI_CP.kd
    .uniform_work_group_size: 1
    .uses_dynamic_stack: false
    .vgpr_count:     20
    .vgpr_spill_count: 0
    .wavefront_size: 64
amdhsa.target:   amdgcn-amd-amdhsa--gfx906
amdhsa.version:
  - 1
  - 2
...

	.end_amdgpu_metadata
